;; amdgpu-corpus repo=zjin-lcf/HeCBench kind=compiled arch=gfx950 opt=O3
	.amdgcn_target "amdgcn-amd-amdhsa--gfx950"
	.amdhsa_code_object_version 6
	.text
	.protected	_Z19kernel_1024_one_256PKfS0_S0_S0_Pf ; -- Begin function _Z19kernel_1024_one_256PKfS0_S0_S0_Pf
	.globl	_Z19kernel_1024_one_256PKfS0_S0_S0_Pf
	.p2align	8
	.type	_Z19kernel_1024_one_256PKfS0_S0_S0_Pf,@function
_Z19kernel_1024_one_256PKfS0_S0_S0_Pf:  ; @_Z19kernel_1024_one_256PKfS0_S0_S0_Pf
; %bb.0:
	s_load_dwordx8 s[4:11], s[0:1], 0x0
	v_and_b32_e32 v1, 0x3ff, v0
	v_bfe_u32 v10, v0, 10, 10
	v_lshl_add_u32 v0, v10, 8, v1
	v_lshl_add_u32 v2, s2, 12, v0
	v_ashrrev_i32_e32 v3, 31, v2
	v_add_u32_e32 v8, 0x800, v2
	s_waitcnt lgkmcnt(0)
	v_lshl_add_u64 v[4:5], v[2:3], 2, s[4:5]
	v_add_u32_e32 v6, 0x400, v2
	v_ashrrev_i32_e32 v9, 31, v8
	v_add_u32_e32 v2, 0xc00, v2
	v_ashrrev_i32_e32 v7, 31, v6
	v_lshl_add_u64 v[8:9], v[8:9], 2, s[4:5]
	v_ashrrev_i32_e32 v3, 31, v2
	v_lshlrev_b32_e32 v1, 2, v1
	v_lshl_add_u64 v[6:7], v[6:7], 2, s[4:5]
	v_lshl_add_u64 v[2:3], v[2:3], 2, s[4:5]
	global_load_dword v11, v[4:5], off
	global_load_dword v12, v[6:7], off
	global_load_dword v13, v[8:9], off
	global_load_dword v14, v[2:3], off
	s_nop 0
	global_load_dword v8, v1, s[8:9]
	global_load_dword v9, v1, s[10:11]
	s_load_dwordx2 s[0:1], s[0:1], 0x20
	v_mov_b32_e32 v7, 0
	v_lshlrev_b32_e32 v6, 2, v0
	s_mov_b32 s3, -16
	v_lshl_add_u32 v5, v10, 12, 0
	v_add_u32_e32 v4, 0, v1
	v_add_u32_e32 v1, 0, v6
	v_lshl_add_u64 v[2:3], s[6:7], 0, v[6:7]
	s_mov_b64 s[4:5], 0x4000
	s_waitcnt vmcnt(4)
	ds_write2st64_b32 v1, v11, v12 offset1:16
	s_waitcnt vmcnt(2)
	ds_write2st64_b32 v1, v13, v14 offset0:32 offset1:48
	s_waitcnt vmcnt(0)
	ds_write2st64_b32 v4, v8, v9 offset0:144 offset1:148
	ds_write_b32 v1, v7 offset:32768
	s_waitcnt lgkmcnt(0)
	s_barrier
.LBB0_1:                                ; =>This Inner Loop Header: Depth=1
	v_add_co_u32_e32 v6, vcc, 0x1000, v2
	global_load_dword v10, v[2:3], off
	s_nop 0
	v_addc_co_u32_e32 v7, vcc, 0, v3, vcc
	v_add_co_u32_e32 v8, vcc, 0x2000, v2
	global_load_dword v11, v[6:7], off
	s_nop 0
	v_addc_co_u32_e32 v9, vcc, 0, v3, vcc
	v_add_co_u32_e32 v6, vcc, 0x3000, v2
	s_add_i32 s3, s3, 16
	s_nop 0
	v_addc_co_u32_e32 v7, vcc, 0, v3, vcc
	global_load_dword v12, v[8:9], off
	global_load_dword v13, v[6:7], off
	s_cmpk_gt_u32 s3, 0x3ef
	v_lshl_add_u64 v[2:3], v[2:3], 0, s[4:5]
	s_waitcnt vmcnt(2)
	ds_write2st64_b32 v1, v10, v11 offset0:64 offset1:80
	s_waitcnt vmcnt(0)
	ds_write2st64_b32 v1, v12, v13 offset0:96 offset1:112
	s_waitcnt lgkmcnt(0)
	s_barrier
	ds_read_b32 v18, v1 offset:32768
	ds_read_b32 v19, v5
	ds_read2st64_b32 v[6:7], v4 offset0:64 offset1:68
	ds_read2st64_b32 v[8:9], v4 offset0:72 offset1:76
	;; [unrolled: 1-line block ×6, first 2 shown]
	ds_read_b32 v20, v4 offset:28672
	s_waitcnt lgkmcnt(6)
	v_fmac_f32_e32 v18, v19, v6
	ds_write_b32 v1, v18 offset:32768
	ds_read_b32 v6, v5 offset:4
	s_waitcnt lgkmcnt(0)
	v_fmac_f32_e32 v18, v6, v7
	ds_write_b32 v1, v18 offset:32768
	;; [unrolled: 4-line block ×13, first 2 shown]
	ds_read_b32 v6, v5 offset:52
	ds_read_b32 v7, v4 offset:29696
	s_waitcnt lgkmcnt(0)
	v_fmac_f32_e32 v18, v6, v7
	ds_write_b32 v1, v18 offset:32768
	ds_read_b32 v6, v5 offset:56
	ds_read_b32 v7, v4 offset:30720
	s_waitcnt lgkmcnt(0)
	v_fmac_f32_e32 v18, v6, v7
	ds_write_b32 v1, v18 offset:32768
	ds_read_b32 v6, v5 offset:60
	ds_read_b32 v7, v4 offset:31744
	v_add_u32_e32 v5, 64, v5
	s_waitcnt lgkmcnt(0)
	v_fmac_f32_e32 v18, v6, v7
	ds_write_b32 v1, v18 offset:32768
	s_waitcnt lgkmcnt(0)
	s_barrier
	s_cbranch_scc0 .LBB0_1
; %bb.2:
	ds_read2st64_b32 v[2:3], v4 offset0:144 offset1:148
	ds_read_b32 v1, v1 offset:32768
	s_lshl_b32 s2, s2, 10
	s_ashr_i32 s3, s2, 31
	s_lshl_b64 s[2:3], s[2:3], 2
	s_add_u32 s0, s0, s2
	s_waitcnt lgkmcnt(0)
	v_fmac_f32_e32 v2, v3, v1
	s_addc_u32 s1, s1, s3
	v_max_f32_e32 v1, 0, v2
	v_lshlrev_b32_e32 v0, 2, v0
	global_store_dword v0, v1, s[0:1]
	s_endpgm
	.section	.rodata,"a",@progbits
	.p2align	6, 0x0
	.amdhsa_kernel _Z19kernel_1024_one_256PKfS0_S0_S0_Pf
		.amdhsa_group_segment_fixed_size 0
		.amdhsa_private_segment_fixed_size 0
		.amdhsa_kernarg_size 40
		.amdhsa_user_sgpr_count 2
		.amdhsa_user_sgpr_dispatch_ptr 0
		.amdhsa_user_sgpr_queue_ptr 0
		.amdhsa_user_sgpr_kernarg_segment_ptr 1
		.amdhsa_user_sgpr_dispatch_id 0
		.amdhsa_user_sgpr_kernarg_preload_length 0
		.amdhsa_user_sgpr_kernarg_preload_offset 0
		.amdhsa_user_sgpr_private_segment_size 0
		.amdhsa_uses_dynamic_stack 0
		.amdhsa_enable_private_segment 0
		.amdhsa_system_sgpr_workgroup_id_x 1
		.amdhsa_system_sgpr_workgroup_id_y 0
		.amdhsa_system_sgpr_workgroup_id_z 0
		.amdhsa_system_sgpr_workgroup_info 0
		.amdhsa_system_vgpr_workitem_id 1
		.amdhsa_next_free_vgpr 21
		.amdhsa_next_free_sgpr 12
		.amdhsa_accum_offset 24
		.amdhsa_reserve_vcc 1
		.amdhsa_float_round_mode_32 0
		.amdhsa_float_round_mode_16_64 0
		.amdhsa_float_denorm_mode_32 3
		.amdhsa_float_denorm_mode_16_64 3
		.amdhsa_dx10_clamp 1
		.amdhsa_ieee_mode 1
		.amdhsa_fp16_overflow 0
		.amdhsa_tg_split 0
		.amdhsa_exception_fp_ieee_invalid_op 0
		.amdhsa_exception_fp_denorm_src 0
		.amdhsa_exception_fp_ieee_div_zero 0
		.amdhsa_exception_fp_ieee_overflow 0
		.amdhsa_exception_fp_ieee_underflow 0
		.amdhsa_exception_fp_ieee_inexact 0
		.amdhsa_exception_int_div_zero 0
	.end_amdhsa_kernel
	.text
.Lfunc_end0:
	.size	_Z19kernel_1024_one_256PKfS0_S0_S0_Pf, .Lfunc_end0-_Z19kernel_1024_one_256PKfS0_S0_S0_Pf
                                        ; -- End function
	.set _Z19kernel_1024_one_256PKfS0_S0_S0_Pf.num_vgpr, 21
	.set _Z19kernel_1024_one_256PKfS0_S0_S0_Pf.num_agpr, 0
	.set _Z19kernel_1024_one_256PKfS0_S0_S0_Pf.numbered_sgpr, 12
	.set _Z19kernel_1024_one_256PKfS0_S0_S0_Pf.num_named_barrier, 0
	.set _Z19kernel_1024_one_256PKfS0_S0_S0_Pf.private_seg_size, 0
	.set _Z19kernel_1024_one_256PKfS0_S0_S0_Pf.uses_vcc, 1
	.set _Z19kernel_1024_one_256PKfS0_S0_S0_Pf.uses_flat_scratch, 0
	.set _Z19kernel_1024_one_256PKfS0_S0_S0_Pf.has_dyn_sized_stack, 0
	.set _Z19kernel_1024_one_256PKfS0_S0_S0_Pf.has_recursion, 0
	.set _Z19kernel_1024_one_256PKfS0_S0_S0_Pf.has_indirect_call, 0
	.section	.AMDGPU.csdata,"",@progbits
; Kernel info:
; codeLenInByte = 956
; TotalNumSgprs: 18
; NumVgprs: 21
; NumAgprs: 0
; TotalNumVgprs: 21
; ScratchSize: 0
; MemoryBound: 0
; FloatMode: 240
; IeeeMode: 1
; LDSByteSize: 0 bytes/workgroup (compile time only)
; SGPRBlocks: 2
; VGPRBlocks: 2
; NumSGPRsForWavesPerEU: 18
; NumVGPRsForWavesPerEU: 21
; AccumOffset: 24
; Occupancy: 8
; WaveLimiterHint : 1
; COMPUTE_PGM_RSRC2:SCRATCH_EN: 0
; COMPUTE_PGM_RSRC2:USER_SGPR: 2
; COMPUTE_PGM_RSRC2:TRAP_HANDLER: 0
; COMPUTE_PGM_RSRC2:TGID_X_EN: 1
; COMPUTE_PGM_RSRC2:TGID_Y_EN: 0
; COMPUTE_PGM_RSRC2:TGID_Z_EN: 0
; COMPUTE_PGM_RSRC2:TIDIG_COMP_CNT: 1
; COMPUTE_PGM_RSRC3_GFX90A:ACCUM_OFFSET: 5
; COMPUTE_PGM_RSRC3_GFX90A:TG_SPLIT: 0
	.text
	.protected	_Z19kernel_256_one_1024PKfS0_S0_S0_Pf ; -- Begin function _Z19kernel_256_one_1024PKfS0_S0_S0_Pf
	.globl	_Z19kernel_256_one_1024PKfS0_S0_S0_Pf
	.p2align	8
	.type	_Z19kernel_256_one_1024PKfS0_S0_S0_Pf,@function
_Z19kernel_256_one_1024PKfS0_S0_S0_Pf:  ; @_Z19kernel_256_one_1024PKfS0_S0_S0_Pf
; %bb.0:
	s_load_dwordx8 s[4:11], s[0:1], 0x0
	v_and_b32_e32 v2, 0x3ff, v0
	v_bfe_u32 v8, v0, 10, 10
	v_lshl_add_u32 v9, v8, 8, v2
	v_lshl_add_u32 v0, s2, 10, v9
	v_ashrrev_i32_e32 v1, 31, v0
	s_waitcnt lgkmcnt(0)
	v_lshl_add_u64 v[0:1], v[0:1], 2, s[4:5]
	s_lshl_b32 s4, s3, 8
	global_load_dword v10, v[0:1], off
	v_add_u32_e32 v0, s4, v2
	v_ashrrev_i32_e32 v1, 31, v0
	v_lshlrev_b64 v[4:5], 2, v[0:1]
	v_lshl_add_u64 v[6:7], s[8:9], 0, v[4:5]
	v_lshl_add_u64 v[4:5], s[10:11], 0, v[4:5]
	global_load_dword v6, v[6:7], off
	s_load_dwordx2 s[0:1], s[0:1], 0x20
	global_load_dword v5, v[4:5], off
	s_mov_b32 s3, 0
	v_lshl_add_u32 v3, v2, 2, 0
	v_lshlrev_b32_e32 v1, 10, v8
	v_lshl_add_u32 v4, v9, 2, 0
	s_movk_i32 s5, 0xffe0
	v_mov_b32_e32 v7, 0
	s_waitcnt vmcnt(2)
	ds_write_b32 v4, v10
	s_waitcnt vmcnt(0)
	ds_write2st64_b32 v3, v6, v5 offset0:160 offset1:164
	ds_write_b32 v4, v7 offset:36864
	s_waitcnt lgkmcnt(0)
	s_barrier
.LBB1_1:                                ; =>This Inner Loop Header: Depth=1
	v_add_u32_e32 v6, v1, v0
	v_ashrrev_i32_e32 v7, 31, v6
	v_add_u32_e32 v8, 0x1000, v6
	v_add_u32_e32 v10, 0x2000, v6
	;; [unrolled: 1-line block ×7, first 2 shown]
	v_lshl_add_u64 v[6:7], v[6:7], 2, s[6:7]
	v_ashrrev_i32_e32 v9, 31, v8
	v_ashrrev_i32_e32 v11, 31, v10
	;; [unrolled: 1-line block ×7, first 2 shown]
	v_lshl_add_u64 v[8:9], v[8:9], 2, s[6:7]
	v_lshl_add_u64 v[10:11], v[10:11], 2, s[6:7]
	;; [unrolled: 1-line block ×7, first 2 shown]
	global_load_dword v22, v[6:7], off
	global_load_dword v23, v[8:9], off
	;; [unrolled: 1-line block ×8, first 2 shown]
	v_add_u32_e32 v5, s3, v1
	s_add_i32 s5, s5, 32
	s_addk_i32 s3, 0x80
	v_add_u32_e32 v0, 0x8000, v0
	s_cmpk_lt_u32 s5, 0xe0
	s_waitcnt vmcnt(6)
	ds_write2st64_b32 v4, v22, v23 offset0:16 offset1:32
	s_waitcnt vmcnt(4)
	ds_write2st64_b32 v4, v24, v25 offset0:48 offset1:64
	;; [unrolled: 2-line block ×4, first 2 shown]
	s_waitcnt lgkmcnt(0)
	s_barrier
	ds_read_b32 v34, v4 offset:36864
	ds_read_b32 v35, v5
	ds_read2st64_b32 v[6:7], v3 offset0:16 offset1:20
	ds_read2st64_b32 v[8:9], v3 offset0:24 offset1:28
	;; [unrolled: 1-line block ×14, first 2 shown]
	ds_read_b32 v36, v3 offset:32768
	s_waitcnt lgkmcnt(14)
	v_fmac_f32_e32 v34, v35, v6
	ds_write_b32 v4, v34 offset:36864
	ds_read_b32 v6, v5 offset:4
	s_waitcnt lgkmcnt(0)
	v_fmac_f32_e32 v34, v6, v7
	ds_write_b32 v4, v34 offset:36864
	;; [unrolled: 4-line block ×29, first 2 shown]
	ds_read_b32 v6, v5 offset:116
	ds_read_b32 v7, v3 offset:33792
	s_waitcnt lgkmcnt(0)
	v_fmac_f32_e32 v34, v6, v7
	ds_write_b32 v4, v34 offset:36864
	ds_read_b32 v6, v5 offset:120
	ds_read_b32 v7, v3 offset:34816
	s_waitcnt lgkmcnt(0)
	v_fmac_f32_e32 v34, v6, v7
	ds_write_b32 v4, v34 offset:36864
	;; [unrolled: 5-line block ×3, first 2 shown]
	s_waitcnt lgkmcnt(0)
	s_barrier
	s_cbranch_scc1 .LBB1_1
; %bb.2:
	s_lshl_b32 s2, s2, 12
	s_ashr_i32 s3, s2, 31
	ds_read2st64_b32 v[6:7], v3 offset0:160 offset1:164
	ds_read_b32 v0, v4 offset:36864
	s_lshl_b64 s[2:3], s[2:3], 2
	s_add_u32 s2, s0, s2
	s_addc_u32 s3, s1, s3
	s_ashr_i32 s5, s4, 31
	s_lshl_b64 s[0:1], s[4:5], 2
	s_add_u32 s0, s2, s0
	s_waitcnt lgkmcnt(0)
	v_fmac_f32_e32 v6, v7, v0
	v_or_b32_e32 v0, v1, v2
	s_addc_u32 s1, s3, s1
	v_lshlrev_b32_e32 v0, 2, v0
	global_store_dword v0, v6, s[0:1]
	s_endpgm
	.section	.rodata,"a",@progbits
	.p2align	6, 0x0
	.amdhsa_kernel _Z19kernel_256_one_1024PKfS0_S0_S0_Pf
		.amdhsa_group_segment_fixed_size 0
		.amdhsa_private_segment_fixed_size 0
		.amdhsa_kernarg_size 40
		.amdhsa_user_sgpr_count 2
		.amdhsa_user_sgpr_dispatch_ptr 0
		.amdhsa_user_sgpr_queue_ptr 0
		.amdhsa_user_sgpr_kernarg_segment_ptr 1
		.amdhsa_user_sgpr_dispatch_id 0
		.amdhsa_user_sgpr_kernarg_preload_length 0
		.amdhsa_user_sgpr_kernarg_preload_offset 0
		.amdhsa_user_sgpr_private_segment_size 0
		.amdhsa_uses_dynamic_stack 0
		.amdhsa_enable_private_segment 0
		.amdhsa_system_sgpr_workgroup_id_x 1
		.amdhsa_system_sgpr_workgroup_id_y 1
		.amdhsa_system_sgpr_workgroup_id_z 0
		.amdhsa_system_sgpr_workgroup_info 0
		.amdhsa_system_vgpr_workitem_id 1
		.amdhsa_next_free_vgpr 37
		.amdhsa_next_free_sgpr 12
		.amdhsa_accum_offset 40
		.amdhsa_reserve_vcc 0
		.amdhsa_float_round_mode_32 0
		.amdhsa_float_round_mode_16_64 0
		.amdhsa_float_denorm_mode_32 3
		.amdhsa_float_denorm_mode_16_64 3
		.amdhsa_dx10_clamp 1
		.amdhsa_ieee_mode 1
		.amdhsa_fp16_overflow 0
		.amdhsa_tg_split 0
		.amdhsa_exception_fp_ieee_invalid_op 0
		.amdhsa_exception_fp_denorm_src 0
		.amdhsa_exception_fp_ieee_div_zero 0
		.amdhsa_exception_fp_ieee_overflow 0
		.amdhsa_exception_fp_ieee_underflow 0
		.amdhsa_exception_fp_ieee_inexact 0
		.amdhsa_exception_int_div_zero 0
	.end_amdhsa_kernel
	.text
.Lfunc_end1:
	.size	_Z19kernel_256_one_1024PKfS0_S0_S0_Pf, .Lfunc_end1-_Z19kernel_256_one_1024PKfS0_S0_S0_Pf
                                        ; -- End function
	.set _Z19kernel_256_one_1024PKfS0_S0_S0_Pf.num_vgpr, 37
	.set _Z19kernel_256_one_1024PKfS0_S0_S0_Pf.num_agpr, 0
	.set _Z19kernel_256_one_1024PKfS0_S0_S0_Pf.numbered_sgpr, 12
	.set _Z19kernel_256_one_1024PKfS0_S0_S0_Pf.num_named_barrier, 0
	.set _Z19kernel_256_one_1024PKfS0_S0_S0_Pf.private_seg_size, 0
	.set _Z19kernel_256_one_1024PKfS0_S0_S0_Pf.uses_vcc, 0
	.set _Z19kernel_256_one_1024PKfS0_S0_S0_Pf.uses_flat_scratch, 0
	.set _Z19kernel_256_one_1024PKfS0_S0_S0_Pf.has_dyn_sized_stack, 0
	.set _Z19kernel_256_one_1024PKfS0_S0_S0_Pf.has_recursion, 0
	.set _Z19kernel_256_one_1024PKfS0_S0_S0_Pf.has_indirect_call, 0
	.section	.AMDGPU.csdata,"",@progbits
; Kernel info:
; codeLenInByte = 1508
; TotalNumSgprs: 18
; NumVgprs: 37
; NumAgprs: 0
; TotalNumVgprs: 37
; ScratchSize: 0
; MemoryBound: 1
; FloatMode: 240
; IeeeMode: 1
; LDSByteSize: 0 bytes/workgroup (compile time only)
; SGPRBlocks: 2
; VGPRBlocks: 4
; NumSGPRsForWavesPerEU: 18
; NumVGPRsForWavesPerEU: 37
; AccumOffset: 40
; Occupancy: 8
; WaveLimiterHint : 1
; COMPUTE_PGM_RSRC2:SCRATCH_EN: 0
; COMPUTE_PGM_RSRC2:USER_SGPR: 2
; COMPUTE_PGM_RSRC2:TRAP_HANDLER: 0
; COMPUTE_PGM_RSRC2:TGID_X_EN: 1
; COMPUTE_PGM_RSRC2:TGID_Y_EN: 1
; COMPUTE_PGM_RSRC2:TGID_Z_EN: 0
; COMPUTE_PGM_RSRC2:TIDIG_COMP_CNT: 1
; COMPUTE_PGM_RSRC3_GFX90A:ACCUM_OFFSET: 9
; COMPUTE_PGM_RSRC3_GFX90A:TG_SPLIT: 0
	.text
	.p2alignl 6, 3212836864
	.fill 256, 4, 3212836864
	.section	.AMDGPU.gpr_maximums,"",@progbits
	.set amdgpu.max_num_vgpr, 0
	.set amdgpu.max_num_agpr, 0
	.set amdgpu.max_num_sgpr, 0
	.text
	.type	__hip_cuid_27900571582491c2,@object ; @__hip_cuid_27900571582491c2
	.section	.bss,"aw",@nobits
	.globl	__hip_cuid_27900571582491c2
__hip_cuid_27900571582491c2:
	.byte	0                               ; 0x0
	.size	__hip_cuid_27900571582491c2, 1

	.ident	"AMD clang version 22.0.0git (https://github.com/RadeonOpenCompute/llvm-project roc-7.2.4 26084 f58b06dce1f9c15707c5f808fd002e18c2accf7e)"
	.section	".note.GNU-stack","",@progbits
	.addrsig
	.addrsig_sym __hip_cuid_27900571582491c2
	.amdgpu_metadata
---
amdhsa.kernels:
  - .agpr_count:     0
    .args:
      - .actual_access:  read_only
        .address_space:  global
        .offset:         0
        .size:           8
        .value_kind:     global_buffer
      - .actual_access:  read_only
        .address_space:  global
        .offset:         8
        .size:           8
        .value_kind:     global_buffer
      - .actual_access:  read_only
        .address_space:  global
        .offset:         16
        .size:           8
        .value_kind:     global_buffer
      - .actual_access:  read_only
        .address_space:  global
        .offset:         24
        .size:           8
        .value_kind:     global_buffer
      - .actual_access:  write_only
        .address_space:  global
        .offset:         32
        .size:           8
        .value_kind:     global_buffer
    .group_segment_fixed_size: 0
    .kernarg_segment_align: 8
    .kernarg_segment_size: 40
    .language:       OpenCL C
    .language_version:
      - 2
      - 0
    .max_flat_workgroup_size: 1024
    .name:           _Z19kernel_1024_one_256PKfS0_S0_S0_Pf
    .private_segment_fixed_size: 0
    .sgpr_count:     18
    .sgpr_spill_count: 0
    .symbol:         _Z19kernel_1024_one_256PKfS0_S0_S0_Pf.kd
    .uniform_work_group_size: 1
    .uses_dynamic_stack: false
    .vgpr_count:     21
    .vgpr_spill_count: 0
    .wavefront_size: 64
  - .agpr_count:     0
    .args:
      - .actual_access:  read_only
        .address_space:  global
        .offset:         0
        .size:           8
        .value_kind:     global_buffer
      - .actual_access:  read_only
        .address_space:  global
        .offset:         8
        .size:           8
        .value_kind:     global_buffer
      - .actual_access:  read_only
        .address_space:  global
        .offset:         16
        .size:           8
        .value_kind:     global_buffer
      - .actual_access:  read_only
        .address_space:  global
        .offset:         24
        .size:           8
        .value_kind:     global_buffer
      - .actual_access:  write_only
        .address_space:  global
        .offset:         32
        .size:           8
        .value_kind:     global_buffer
    .group_segment_fixed_size: 0
    .kernarg_segment_align: 8
    .kernarg_segment_size: 40
    .language:       OpenCL C
    .language_version:
      - 2
      - 0
    .max_flat_workgroup_size: 1024
    .name:           _Z19kernel_256_one_1024PKfS0_S0_S0_Pf
    .private_segment_fixed_size: 0
    .sgpr_count:     18
    .sgpr_spill_count: 0
    .symbol:         _Z19kernel_256_one_1024PKfS0_S0_S0_Pf.kd
    .uniform_work_group_size: 1
    .uses_dynamic_stack: false
    .vgpr_count:     37
    .vgpr_spill_count: 0
    .wavefront_size: 64
amdhsa.target:   amdgcn-amd-amdhsa--gfx950
amdhsa.version:
  - 1
  - 2
...

	.end_amdgpu_metadata
